;; amdgpu-corpus repo=ROCm/rocFFT kind=compiled arch=gfx906 opt=O3
	.text
	.amdgcn_target "amdgcn-amd-amdhsa--gfx906"
	.amdhsa_code_object_version 6
	.protected	fft_rtc_back_len780_factors_2_3_13_5_2_wgs_234_tpt_78_halfLds_dp_ip_CI_unitstride_sbrr_dirReg ; -- Begin function fft_rtc_back_len780_factors_2_3_13_5_2_wgs_234_tpt_78_halfLds_dp_ip_CI_unitstride_sbrr_dirReg
	.globl	fft_rtc_back_len780_factors_2_3_13_5_2_wgs_234_tpt_78_halfLds_dp_ip_CI_unitstride_sbrr_dirReg
	.p2align	8
	.type	fft_rtc_back_len780_factors_2_3_13_5_2_wgs_234_tpt_78_halfLds_dp_ip_CI_unitstride_sbrr_dirReg,@function
fft_rtc_back_len780_factors_2_3_13_5_2_wgs_234_tpt_78_halfLds_dp_ip_CI_unitstride_sbrr_dirReg: ; @fft_rtc_back_len780_factors_2_3_13_5_2_wgs_234_tpt_78_halfLds_dp_ip_CI_unitstride_sbrr_dirReg
; %bb.0:
	s_load_dwordx2 s[12:13], s[4:5], 0x50
	s_load_dwordx4 s[8:11], s[4:5], 0x0
	s_load_dwordx2 s[2:3], s[4:5], 0x18
	v_mul_u32_u24_e32 v1, 0x349, v0
	v_lshrrev_b32_e32 v1, 16, v1
	v_mad_u64_u32 v[1:2], s[0:1], s6, 3, v[1:2]
	v_mov_b32_e32 v5, 0
	s_waitcnt lgkmcnt(0)
	v_cmp_lt_u64_e64 s[0:1], s[10:11], 2
	v_mov_b32_e32 v2, v5
	v_mov_b32_e32 v3, 0
	;; [unrolled: 1-line block ×3, first 2 shown]
	s_and_b64 vcc, exec, s[0:1]
	v_mov_b32_e32 v4, 0
	v_mov_b32_e32 v9, v1
	s_cbranch_vccnz .LBB0_8
; %bb.1:
	s_load_dwordx2 s[0:1], s[4:5], 0x10
	s_add_u32 s6, s2, 8
	s_addc_u32 s7, s3, 0
	v_mov_b32_e32 v3, 0
	v_mov_b32_e32 v8, v2
	s_waitcnt lgkmcnt(0)
	s_add_u32 s16, s0, 8
	s_mov_b64 s[14:15], 1
	v_mov_b32_e32 v4, 0
	s_addc_u32 s17, s1, 0
	v_mov_b32_e32 v7, v1
.LBB0_2:                                ; =>This Inner Loop Header: Depth=1
	s_load_dwordx2 s[18:19], s[16:17], 0x0
                                        ; implicit-def: $vgpr9_vgpr10
	s_waitcnt lgkmcnt(0)
	v_or_b32_e32 v6, s19, v8
	v_cmp_ne_u64_e32 vcc, 0, v[5:6]
	s_and_saveexec_b64 s[0:1], vcc
	s_xor_b64 s[20:21], exec, s[0:1]
	s_cbranch_execz .LBB0_4
; %bb.3:                                ;   in Loop: Header=BB0_2 Depth=1
	v_cvt_f32_u32_e32 v2, s18
	v_cvt_f32_u32_e32 v6, s19
	s_sub_u32 s0, 0, s18
	s_subb_u32 s1, 0, s19
	v_mac_f32_e32 v2, 0x4f800000, v6
	v_rcp_f32_e32 v2, v2
	v_mul_f32_e32 v2, 0x5f7ffffc, v2
	v_mul_f32_e32 v6, 0x2f800000, v2
	v_trunc_f32_e32 v6, v6
	v_mac_f32_e32 v2, 0xcf800000, v6
	v_cvt_u32_f32_e32 v6, v6
	v_cvt_u32_f32_e32 v2, v2
	v_mul_lo_u32 v9, s0, v6
	v_mul_hi_u32 v10, s0, v2
	v_mul_lo_u32 v12, s1, v2
	v_mul_lo_u32 v11, s0, v2
	v_add_u32_e32 v9, v10, v9
	v_add_u32_e32 v9, v9, v12
	v_mul_hi_u32 v10, v2, v11
	v_mul_lo_u32 v12, v2, v9
	v_mul_hi_u32 v14, v2, v9
	v_mul_hi_u32 v13, v6, v11
	v_mul_lo_u32 v11, v6, v11
	v_mul_hi_u32 v15, v6, v9
	v_add_co_u32_e32 v10, vcc, v10, v12
	v_addc_co_u32_e32 v12, vcc, 0, v14, vcc
	v_mul_lo_u32 v9, v6, v9
	v_add_co_u32_e32 v10, vcc, v10, v11
	v_addc_co_u32_e32 v10, vcc, v12, v13, vcc
	v_addc_co_u32_e32 v11, vcc, 0, v15, vcc
	v_add_co_u32_e32 v9, vcc, v10, v9
	v_addc_co_u32_e32 v10, vcc, 0, v11, vcc
	v_add_co_u32_e32 v2, vcc, v2, v9
	v_addc_co_u32_e32 v6, vcc, v6, v10, vcc
	v_mul_lo_u32 v9, s0, v6
	v_mul_hi_u32 v10, s0, v2
	v_mul_lo_u32 v11, s1, v2
	v_mul_lo_u32 v12, s0, v2
	v_add_u32_e32 v9, v10, v9
	v_add_u32_e32 v9, v9, v11
	v_mul_lo_u32 v13, v2, v9
	v_mul_hi_u32 v14, v2, v12
	v_mul_hi_u32 v15, v2, v9
	;; [unrolled: 1-line block ×3, first 2 shown]
	v_mul_lo_u32 v12, v6, v12
	v_mul_hi_u32 v10, v6, v9
	v_add_co_u32_e32 v13, vcc, v14, v13
	v_addc_co_u32_e32 v14, vcc, 0, v15, vcc
	v_mul_lo_u32 v9, v6, v9
	v_add_co_u32_e32 v12, vcc, v13, v12
	v_addc_co_u32_e32 v11, vcc, v14, v11, vcc
	v_addc_co_u32_e32 v10, vcc, 0, v10, vcc
	v_add_co_u32_e32 v9, vcc, v11, v9
	v_addc_co_u32_e32 v10, vcc, 0, v10, vcc
	v_add_co_u32_e32 v2, vcc, v2, v9
	v_addc_co_u32_e32 v6, vcc, v6, v10, vcc
	v_mad_u64_u32 v[9:10], s[0:1], v7, v6, 0
	v_mul_hi_u32 v11, v7, v2
	v_add_co_u32_e32 v13, vcc, v11, v9
	v_addc_co_u32_e32 v14, vcc, 0, v10, vcc
	v_mad_u64_u32 v[9:10], s[0:1], v8, v2, 0
	v_mad_u64_u32 v[11:12], s[0:1], v8, v6, 0
	v_add_co_u32_e32 v2, vcc, v13, v9
	v_addc_co_u32_e32 v2, vcc, v14, v10, vcc
	v_addc_co_u32_e32 v6, vcc, 0, v12, vcc
	v_add_co_u32_e32 v2, vcc, v2, v11
	v_addc_co_u32_e32 v6, vcc, 0, v6, vcc
	v_mul_lo_u32 v11, s19, v2
	v_mul_lo_u32 v12, s18, v6
	v_mad_u64_u32 v[9:10], s[0:1], s18, v2, 0
	v_add3_u32 v10, v10, v12, v11
	v_sub_u32_e32 v11, v8, v10
	v_mov_b32_e32 v12, s19
	v_sub_co_u32_e32 v9, vcc, v7, v9
	v_subb_co_u32_e64 v11, s[0:1], v11, v12, vcc
	v_subrev_co_u32_e64 v12, s[0:1], s18, v9
	v_subbrev_co_u32_e64 v11, s[0:1], 0, v11, s[0:1]
	v_cmp_le_u32_e64 s[0:1], s19, v11
	v_cndmask_b32_e64 v13, 0, -1, s[0:1]
	v_cmp_le_u32_e64 s[0:1], s18, v12
	v_cndmask_b32_e64 v12, 0, -1, s[0:1]
	v_cmp_eq_u32_e64 s[0:1], s19, v11
	v_cndmask_b32_e64 v11, v13, v12, s[0:1]
	v_add_co_u32_e64 v12, s[0:1], 2, v2
	v_addc_co_u32_e64 v13, s[0:1], 0, v6, s[0:1]
	v_add_co_u32_e64 v14, s[0:1], 1, v2
	v_addc_co_u32_e64 v15, s[0:1], 0, v6, s[0:1]
	v_subb_co_u32_e32 v10, vcc, v8, v10, vcc
	v_cmp_ne_u32_e64 s[0:1], 0, v11
	v_cmp_le_u32_e32 vcc, s19, v10
	v_cndmask_b32_e64 v11, v15, v13, s[0:1]
	v_cndmask_b32_e64 v13, 0, -1, vcc
	v_cmp_le_u32_e32 vcc, s18, v9
	v_cndmask_b32_e64 v9, 0, -1, vcc
	v_cmp_eq_u32_e32 vcc, s19, v10
	v_cndmask_b32_e32 v9, v13, v9, vcc
	v_cmp_ne_u32_e32 vcc, 0, v9
	v_cndmask_b32_e32 v10, v6, v11, vcc
	v_cndmask_b32_e64 v6, v14, v12, s[0:1]
	v_cndmask_b32_e32 v9, v2, v6, vcc
.LBB0_4:                                ;   in Loop: Header=BB0_2 Depth=1
	s_andn2_saveexec_b64 s[0:1], s[20:21]
	s_cbranch_execz .LBB0_6
; %bb.5:                                ;   in Loop: Header=BB0_2 Depth=1
	v_cvt_f32_u32_e32 v2, s18
	s_sub_i32 s20, 0, s18
	v_rcp_iflag_f32_e32 v2, v2
	v_mul_f32_e32 v2, 0x4f7ffffe, v2
	v_cvt_u32_f32_e32 v2, v2
	v_mul_lo_u32 v6, s20, v2
	v_mul_hi_u32 v6, v2, v6
	v_add_u32_e32 v2, v2, v6
	v_mul_hi_u32 v2, v7, v2
	v_mul_lo_u32 v6, v2, s18
	v_add_u32_e32 v9, 1, v2
	v_sub_u32_e32 v6, v7, v6
	v_subrev_u32_e32 v10, s18, v6
	v_cmp_le_u32_e32 vcc, s18, v6
	v_cndmask_b32_e32 v6, v6, v10, vcc
	v_cndmask_b32_e32 v2, v2, v9, vcc
	v_add_u32_e32 v9, 1, v2
	v_cmp_le_u32_e32 vcc, s18, v6
	v_cndmask_b32_e32 v9, v2, v9, vcc
	v_mov_b32_e32 v10, v5
.LBB0_6:                                ;   in Loop: Header=BB0_2 Depth=1
	s_or_b64 exec, exec, s[0:1]
	v_mul_lo_u32 v2, v10, s18
	v_mul_lo_u32 v6, v9, s19
	v_mad_u64_u32 v[11:12], s[0:1], v9, s18, 0
	s_load_dwordx2 s[0:1], s[6:7], 0x0
	s_add_u32 s14, s14, 1
	v_add3_u32 v2, v12, v6, v2
	v_sub_co_u32_e32 v6, vcc, v7, v11
	v_subb_co_u32_e32 v2, vcc, v8, v2, vcc
	s_waitcnt lgkmcnt(0)
	v_mul_lo_u32 v2, s0, v2
	v_mul_lo_u32 v7, s1, v6
	v_mad_u64_u32 v[3:4], s[0:1], s0, v6, v[3:4]
	s_addc_u32 s15, s15, 0
	s_add_u32 s6, s6, 8
	v_add3_u32 v4, v7, v4, v2
	v_mov_b32_e32 v6, s10
	v_mov_b32_e32 v7, s11
	s_addc_u32 s7, s7, 0
	v_cmp_ge_u64_e32 vcc, s[14:15], v[6:7]
	s_add_u32 s16, s16, 8
	s_addc_u32 s17, s17, 0
	s_cbranch_vccnz .LBB0_8
; %bb.7:                                ;   in Loop: Header=BB0_2 Depth=1
	v_mov_b32_e32 v7, v9
	v_mov_b32_e32 v8, v10
	s_branch .LBB0_2
.LBB0_8:
	s_lshl_b64 s[0:1], s[10:11], 3
	s_add_u32 s0, s2, s0
	s_addc_u32 s1, s3, s1
	s_load_dwordx2 s[2:3], s[0:1], 0x0
	s_load_dwordx2 s[6:7], s[4:5], 0x20
                                        ; implicit-def: $vgpr42_vgpr43
                                        ; implicit-def: $vgpr34_vgpr35
                                        ; implicit-def: $vgpr38_vgpr39
                                        ; implicit-def: $vgpr26_vgpr27
                                        ; implicit-def: $vgpr50_vgpr51
                                        ; implicit-def: $vgpr22_vgpr23
                                        ; implicit-def: $vgpr54_vgpr55
                                        ; implicit-def: $vgpr12_vgpr13
                                        ; implicit-def: $vgpr46_vgpr47
	s_waitcnt lgkmcnt(0)
	v_mad_u64_u32 v[2:3], s[0:1], s2, v9, v[3:4]
	v_mul_lo_u32 v5, s2, v10
	v_mul_lo_u32 v6, s3, v9
	s_mov_b32 s0, 0x3483484
	v_mul_hi_u32 v4, v0, s0
	v_cmp_gt_u64_e32 vcc, s[6:7], v[9:10]
	v_add3_u32 v3, v6, v3, v5
	v_lshlrev_b64 v[56:57], 4, v[2:3]
	v_mul_u32_u24_e32 v4, 0x4e, v4
	v_sub_u32_e32 v58, v0, v4
                                        ; implicit-def: $vgpr6_vgpr7
	s_and_saveexec_b64 s[2:3], vcc
	s_cbranch_execz .LBB0_10
; %bb.9:
	v_mov_b32_e32 v59, 0
	v_mov_b32_e32 v0, s13
	v_add_co_u32_e64 v4, s[0:1], s12, v56
	v_lshlrev_b64 v[2:3], 4, v[58:59]
	v_addc_co_u32_e64 v0, s[0:1], v0, v57, s[0:1]
	v_add_co_u32_e64 v2, s[0:1], v4, v2
	v_addc_co_u32_e64 v3, s[0:1], v0, v3, s[0:1]
	s_movk_i32 s0, 0x1000
	v_add_co_u32_e64 v8, s[0:1], s0, v2
	v_addc_co_u32_e64 v9, s[0:1], 0, v3, s[0:1]
	s_movk_i32 s0, 0x2000
	v_add_co_u32_e64 v14, s[0:1], s0, v2
	global_load_dwordx4 v[4:7], v[2:3], off
	global_load_dwordx4 v[10:13], v[2:3], off offset:1248
	v_addc_co_u32_e64 v15, s[0:1], 0, v3, s[0:1]
	global_load_dwordx4 v[20:23], v[2:3], off offset:2496
	global_load_dwordx4 v[24:27], v[2:3], off offset:3744
	;; [unrolled: 1-line block ×8, first 2 shown]
.LBB0_10:
	s_or_b64 exec, exec, s[2:3]
	s_waitcnt vmcnt(5)
	v_add_f64 v[16:17], v[4:5], -v[44:45]
	s_mov_b32 s0, 0xaaaaaaab
	v_mul_hi_u32 v0, v1, s0
	s_waitcnt vmcnt(0)
	v_add_f64 v[2:3], v[32:33], -v[40:41]
	v_add_f64 v[62:63], v[10:11], -v[52:53]
	v_add_f64 v[18:19], v[20:21], -v[48:49]
	v_add_f64 v[66:67], v[24:25], -v[36:37]
	v_lshrrev_b32_e32 v0, 1, v0
	v_fma_f64 v[14:15], v[4:5], 2.0, -v[16:17]
	v_lshl_add_u32 v0, v0, 1, v0
	v_sub_u32_e32 v0, v1, v0
	v_mul_u32_u24_e32 v0, 0x30c, v0
	v_lshlrev_b32_e32 v92, 3, v0
	v_add_u32_e32 v8, 0, v92
	v_fma_f64 v[0:1], v[32:33], 2.0, -v[2:3]
	v_lshl_add_u32 v36, v58, 4, v8
	v_fma_f64 v[60:61], v[10:11], 2.0, -v[62:63]
	ds_write_b128 v36, v[14:17]
	v_fma_f64 v[16:17], v[20:21], 2.0, -v[18:19]
	v_fma_f64 v[64:65], v[24:25], 2.0, -v[66:67]
	v_add_u32_e32 v48, 0x138, v58
	v_lshl_add_u32 v4, v48, 4, v8
	v_add_u32_e32 v59, 0x4e, v58
	v_add_u32_e32 v49, 0x9c, v58
	;; [unrolled: 1-line block ×3, first 2 shown]
	ds_write_b128 v4, v[0:3]
	v_lshlrev_b32_e32 v0, 3, v58
	v_lshl_add_u32 v28, v59, 4, v8
	v_lshl_add_u32 v29, v49, 4, v8
	;; [unrolled: 1-line block ×3, first 2 shown]
	v_add_u32_e32 v89, v8, v0
	v_add3_u32 v90, 0, v0, v92
	ds_write_b128 v28, v[60:63]
	ds_write_b128 v29, v[16:19]
	;; [unrolled: 1-line block ×3, first 2 shown]
	s_waitcnt lgkmcnt(0)
	s_barrier
	v_add_u32_e32 v37, 0x800, v90
	v_add_u32_e32 v61, 0xc00, v90
	v_add_u32_e32 v60, 0x1000, v90
	ds_read_b64 v[0:1], v89
	ds_read2_b64 v[30:33], v37 offset0:4 offset1:82
	ds_read2_b64 v[18:21], v61 offset0:32 offset1:136
	;; [unrolled: 1-line block ×4, first 2 shown]
	v_cmp_gt_u32_e64 s[2:3], 26, v58
                                        ; implicit-def: $vgpr44_vgpr45
                                        ; implicit-def: $vgpr52_vgpr53
	s_and_saveexec_b64 s[0:1], s[2:3]
	s_cbranch_execz .LBB0_12
; %bb.11:
	ds_read_b64 v[2:3], v90 offset:1872
	ds_read_b64 v[52:53], v90 offset:3952
	ds_read_b64 v[44:45], v90 offset:6032
.LBB0_12:
	s_or_b64 exec, exec, s[0:1]
	v_add_f64 v[40:41], v[6:7], -v[46:47]
	v_add_f64 v[64:65], v[12:13], -v[54:55]
	v_add_f64 v[68:69], v[22:23], -v[50:51]
	v_add_f64 v[72:73], v[26:27], -v[38:39]
	v_add_f64 v[24:25], v[34:35], -v[42:43]
	s_waitcnt lgkmcnt(0)
	s_barrier
	v_fma_f64 v[38:39], v[6:7], 2.0, -v[40:41]
	v_fma_f64 v[62:63], v[12:13], 2.0, -v[64:65]
	;; [unrolled: 1-line block ×5, first 2 shown]
                                        ; implicit-def: $vgpr12_vgpr13
	ds_write_b128 v36, v[38:41]
	ds_write_b128 v28, v[62:65]
	;; [unrolled: 1-line block ×5, first 2 shown]
	s_waitcnt lgkmcnt(0)
	s_barrier
	ds_read_b64 v[42:43], v89
	ds_read2_b64 v[38:41], v37 offset0:4 offset1:82
	ds_read2_b64 v[34:37], v61 offset0:32 offset1:136
	;; [unrolled: 1-line block ×4, first 2 shown]
                                        ; implicit-def: $vgpr22_vgpr23
	s_and_saveexec_b64 s[0:1], s[2:3]
	s_cbranch_execz .LBB0_14
; %bb.13:
	ds_read_b64 v[24:25], v90 offset:1872
	ds_read_b64 v[22:23], v90 offset:3952
	;; [unrolled: 1-line block ×3, first 2 shown]
.LBB0_14:
	s_or_b64 exec, exec, s[0:1]
	v_and_b32_e32 v73, 1, v58
	v_lshlrev_b32_e32 v46, 5, v73
	global_load_dwordx4 v[63:66], v46, s[8:9]
	global_load_dwordx4 v[78:81], v46, s[8:9] offset:16
	v_lshrrev_b32_e32 v46, 1, v59
	v_lshrrev_b32_e32 v55, 1, v49
	;; [unrolled: 1-line block ×3, first 2 shown]
	v_mul_u32_u24_e32 v47, 6, v47
	v_mul_u32_u24_e32 v46, 6, v46
	;; [unrolled: 1-line block ×3, first 2 shown]
	v_or_b32_e32 v47, v47, v73
	v_or_b32_e32 v46, v46, v73
	;; [unrolled: 1-line block ×3, first 2 shown]
	v_lshlrev_b32_e32 v47, 3, v47
	v_lshlrev_b32_e32 v46, 3, v46
	;; [unrolled: 1-line block ×3, first 2 shown]
	v_add3_u32 v77, 0, v47, v92
	v_add3_u32 v76, 0, v46, v92
	;; [unrolled: 1-line block ×3, first 2 shown]
	s_mov_b32 s0, 0xe8584caa
	s_mov_b32 s1, 0xbfebb67a
	;; [unrolled: 1-line block ×4, first 2 shown]
	v_lshrrev_b32_e32 v91, 1, v74
	s_waitcnt vmcnt(0) lgkmcnt(0)
	s_barrier
	v_mul_f64 v[46:47], v[38:39], v[65:66]
	v_mul_f64 v[49:50], v[40:41], v[65:66]
	;; [unrolled: 1-line block ×16, first 2 shown]
	v_fma_f64 v[67:68], v[30:31], v[63:64], v[46:47]
	v_fma_f64 v[49:50], v[32:33], v[63:64], v[49:50]
	v_fma_f64 v[69:70], v[38:39], v[63:64], -v[59:60]
	v_fma_f64 v[30:31], v[52:53], v[63:64], v[71:72]
	v_fma_f64 v[32:33], v[18:19], v[63:64], v[82:83]
	v_fma_f64 v[38:39], v[22:23], v[63:64], -v[65:66]
	v_fma_f64 v[71:72], v[20:21], v[78:79], v[86:87]
	v_fma_f64 v[53:54], v[16:17], v[78:79], v[97:98]
	;; [unrolled: 1-line block ×4, first 2 shown]
	v_fma_f64 v[61:62], v[40:41], v[63:64], -v[61:62]
	v_fma_f64 v[51:52], v[34:35], v[63:64], -v[84:85]
	;; [unrolled: 1-line block ×6, first 2 shown]
	v_add_f64 v[4:5], v[67:68], v[71:72]
	v_add_f64 v[12:13], v[32:33], v[53:54]
	v_add_f64 v[14:15], v[49:50], v[65:66]
	v_add_f64 v[22:23], v[30:31], v[59:60]
	v_add_f64 v[6:7], v[69:70], -v[46:47]
	v_add_f64 v[16:17], v[51:52], -v[34:35]
	v_add_f64 v[18:19], v[8:9], v[49:50]
	v_add_f64 v[20:21], v[10:11], v[32:33]
	;; [unrolled: 1-line block ×3, first 2 shown]
	v_add_f64 v[78:79], v[61:62], -v[36:37]
	v_add_f64 v[63:64], v[0:1], v[67:68]
	v_add_f64 v[80:81], v[38:39], -v[40:41]
	v_fma_f64 v[0:1], v[4:5], -0.5, v[0:1]
	v_fma_f64 v[10:11], v[12:13], -0.5, v[10:11]
	;; [unrolled: 1-line block ×4, first 2 shown]
	v_add_f64 v[12:13], v[18:19], v[65:66]
	v_add_f64 v[2:3], v[20:21], v[53:54]
	v_add_f64 v[63:64], v[63:64], v[71:72]
	v_add_f64 v[4:5], v[44:45], v[59:60]
	v_fma_f64 v[20:21], v[6:7], s[0:1], v[0:1]
	v_fma_f64 v[22:23], v[6:7], s[4:5], v[0:1]
	;; [unrolled: 1-line block ×8, first 2 shown]
	ds_write2_b64 v77, v[63:64], v[20:21] offset1:2
	ds_write_b64 v77, v[22:23] offset:32
	ds_write2_b64 v76, v[12:13], v[14:15] offset1:2
	ds_write_b64 v76, v[0:1] offset:32
	;; [unrolled: 2-line block ×3, first 2 shown]
	s_and_saveexec_b64 s[0:1], s[2:3]
	s_cbranch_execz .LBB0_16
; %bb.15:
	v_mul_u32_u24_e32 v18, 6, v91
	v_or_b32_e32 v18, v18, v73
	v_lshlrev_b32_e32 v18, 3, v18
	v_add3_u32 v18, 0, v18, v92
	ds_write2_b64 v18, v[4:5], v[6:7] offset1:2
	ds_write_b64 v18, v[16:17] offset:32
.LBB0_16:
	s_or_b64 exec, exec, s[0:1]
	v_cmp_gt_u32_e64 s[0:1], 60, v58
	s_waitcnt lgkmcnt(0)
	s_barrier
	s_and_saveexec_b64 s[4:5], s[0:1]
	s_cbranch_execz .LBB0_18
; %bb.17:
	ds_read_b64 v[63:64], v89
	ds_read2_b64 v[20:23], v90 offset0:60 offset1:120
	ds_read2_b64 v[12:15], v90 offset0:180 offset1:240
	v_add_u32_e32 v4, 0x800, v90
	v_add_u32_e32 v16, 0x1000, v90
	ds_read2_b64 v[0:3], v4 offset0:44 offset1:104
	ds_read2_b64 v[8:11], v4 offset0:164 offset1:224
	;; [unrolled: 1-line block ×4, first 2 shown]
.LBB0_18:
	s_or_b64 exec, exec, s[4:5]
	v_add_f64 v[44:45], v[69:70], v[46:47]
	v_add_f64 v[69:70], v[42:43], v[69:70]
	v_add_f64 v[67:68], v[67:68], -v[71:72]
	v_add_f64 v[71:72], v[61:62], v[36:37]
	v_add_f64 v[78:79], v[51:52], v[34:35]
	;; [unrolled: 1-line block ×3, first 2 shown]
	s_mov_b32 s4, 0xe8584caa
	s_mov_b32 s5, 0x3febb67a
	v_fma_f64 v[42:43], v[44:45], -0.5, v[42:43]
	s_mov_b32 s7, 0xbfebb67a
	s_mov_b32 s6, s4
	v_add_f64 v[61:62], v[26:27], v[61:62]
	v_add_f64 v[65:66], v[49:50], -v[65:66]
	v_add_f64 v[49:50], v[69:70], v[46:47]
	v_fma_f64 v[69:70], v[71:72], -0.5, v[26:27]
	v_add_f64 v[30:31], v[30:31], -v[59:60]
	v_fma_f64 v[44:45], v[67:68], s[4:5], v[42:43]
	v_fma_f64 v[46:47], v[67:68], s[6:7], v[42:43]
	v_add_f64 v[42:43], v[28:29], v[51:52]
	v_fma_f64 v[28:29], v[78:79], -0.5, v[28:29]
	v_add_f64 v[51:52], v[32:33], -v[53:54]
	v_add_f64 v[53:54], v[24:25], v[38:39]
	v_fma_f64 v[67:68], v[80:81], -0.5, v[24:25]
	v_add_f64 v[24:25], v[61:62], v[36:37]
	v_fma_f64 v[26:27], v[65:66], s[4:5], v[69:70]
	v_fma_f64 v[32:33], v[65:66], s[6:7], v[69:70]
	v_add_f64 v[34:35], v[42:43], v[34:35]
	s_waitcnt lgkmcnt(0)
	v_fma_f64 v[36:37], v[51:52], s[4:5], v[28:29]
	v_fma_f64 v[38:39], v[51:52], s[6:7], v[28:29]
	v_add_f64 v[40:41], v[53:54], v[40:41]
	v_fma_f64 v[42:43], v[30:31], s[4:5], v[67:68]
	v_fma_f64 v[28:29], v[30:31], s[6:7], v[67:68]
	s_barrier
	ds_write2_b64 v77, v[49:50], v[44:45] offset1:2
	ds_write_b64 v77, v[46:47] offset:32
	ds_write2_b64 v76, v[24:25], v[26:27] offset1:2
	ds_write_b64 v76, v[32:33] offset:32
	;; [unrolled: 2-line block ×3, first 2 shown]
	s_and_saveexec_b64 s[4:5], s[2:3]
	s_cbranch_execz .LBB0_20
; %bb.19:
	v_mul_u32_u24_e32 v30, 6, v91
	v_or_b32_e32 v30, v30, v73
	v_lshlrev_b32_e32 v30, 3, v30
	v_add3_u32 v30, 0, v30, v92
	ds_write2_b64 v30, v[40:41], v[42:43] offset1:2
	ds_write_b64 v30, v[28:29] offset:32
.LBB0_20:
	s_or_b64 exec, exec, s[4:5]
	s_waitcnt lgkmcnt(0)
	s_barrier
	s_and_saveexec_b64 s[2:3], s[0:1]
	s_cbranch_execz .LBB0_22
; %bb.21:
	v_add_u32_e32 v28, 0x800, v90
	ds_read_b64 v[49:50], v89
	ds_read2_b64 v[44:47], v90 offset0:60 offset1:120
	ds_read2_b64 v[24:27], v90 offset0:180 offset1:240
	;; [unrolled: 1-line block ×4, first 2 shown]
	v_add_u32_e32 v28, 0x1000, v90
	ds_read2_b64 v[40:43], v28 offset0:28 offset1:88
	ds_read2_b64 v[28:31], v28 offset0:148 offset1:208
.LBB0_22:
	s_or_b64 exec, exec, s[2:3]
	s_movk_i32 s2, 0xab
	v_mul_lo_u16_sdwa v51, v58, s2 dst_sel:DWORD dst_unused:UNUSED_PAD src0_sel:BYTE_0 src1_sel:DWORD
	v_lshrrev_b16_e32 v93, 10, v51
	v_mul_lo_u16_e32 v51, 6, v93
	v_sub_u16_e32 v94, v58, v51
	v_mov_b32_e32 v51, 12
	v_mul_u32_u24_sdwa v51, v94, v51 dst_sel:DWORD dst_unused:UNUSED_PAD src0_sel:BYTE_0 src1_sel:DWORD
	v_lshlrev_b32_e32 v65, 4, v51
	global_load_dwordx4 v[51:54], v65, s[8:9] offset:64
	global_load_dwordx4 v[59:62], v65, s[8:9] offset:80
	;; [unrolled: 1-line block ×12, first 2 shown]
	s_waitcnt vmcnt(0) lgkmcnt(0)
	s_barrier
	v_mul_f64 v[65:66], v[44:45], v[53:54]
	v_mul_f64 v[53:54], v[20:21], v[53:54]
	;; [unrolled: 1-line block ×12, first 2 shown]
	v_fma_f64 v[71:72], v[20:21], v[51:52], v[65:66]
	v_fma_f64 v[73:74], v[44:45], v[51:52], -v[53:54]
	v_mul_f64 v[127:128], v[36:37], v[97:98]
	v_mul_f64 v[97:98], v[8:9], v[97:98]
	v_fma_f64 v[65:66], v[22:23], v[59:60], v[67:68]
	v_mul_f64 v[129:130], v[38:39], v[101:102]
	v_mul_f64 v[101:102], v[10:11], v[101:102]
	v_fma_f64 v[67:68], v[46:47], v[59:60], -v[61:62]
	v_mul_f64 v[131:132], v[40:41], v[105:106]
	v_mul_f64 v[105:106], v[4:5], v[105:106]
	v_mul_f64 v[133:134], v[42:43], v[109:110]
	v_mul_f64 v[109:110], v[6:7], v[109:110]
	v_fma_f64 v[59:60], v[12:13], v[69:70], v[87:88]
	v_mul_f64 v[12:13], v[28:29], v[113:114]
	v_mul_f64 v[87:88], v[16:17], v[113:114]
	v_fma_f64 v[51:52], v[14:15], v[75:76], v[121:122]
	v_mul_f64 v[14:15], v[30:31], v[117:118]
	v_mul_f64 v[113:114], v[18:19], v[117:118]
	v_fma_f64 v[61:62], v[24:25], v[69:70], -v[119:120]
	v_fma_f64 v[53:54], v[26:27], v[75:76], -v[77:78]
	v_fma_f64 v[44:45], v[0:1], v[79:80], v[123:124]
	v_fma_f64 v[46:47], v[32:33], v[79:80], -v[81:82]
	v_fma_f64 v[20:21], v[2:3], v[83:84], v[125:126]
	v_fma_f64 v[24:25], v[34:35], v[83:84], -v[85:86]
	v_fma_f64 v[22:23], v[8:9], v[95:96], v[127:128]
	v_fma_f64 v[26:27], v[36:37], v[95:96], -v[97:98]
	v_fma_f64 v[32:33], v[10:11], v[99:100], v[129:130]
	v_fma_f64 v[34:35], v[38:39], v[99:100], -v[101:102]
	v_fma_f64 v[36:37], v[4:5], v[103:104], v[131:132]
	v_fma_f64 v[38:39], v[40:41], v[103:104], -v[105:106]
	v_fma_f64 v[40:41], v[6:7], v[107:108], v[133:134]
	v_fma_f64 v[42:43], v[42:43], v[107:108], -v[109:110]
	v_fma_f64 v[69:70], v[16:17], v[111:112], v[12:13]
	v_fma_f64 v[28:29], v[28:29], v[111:112], -v[87:88]
	v_fma_f64 v[18:19], v[18:19], v[115:116], v[14:15]
	v_fma_f64 v[16:17], v[30:31], v[115:116], -v[113:114]
	s_and_saveexec_b64 s[2:3], s[0:1]
	s_cbranch_execz .LBB0_24
; %bb.23:
	v_add_f64 v[30:31], v[73:74], -v[16:17]
	s_mov_b32 s4, 0x4bc48dbf
	s_mov_b32 s5, 0xbfcea1e5
	v_add_f64 v[77:78], v[67:68], -v[28:29]
	v_add_f64 v[79:80], v[71:72], v[18:19]
	s_mov_b32 s6, 0x93053d00
	s_mov_b32 s15, 0x3fddbe06
	;; [unrolled: 1-line block ×3, first 2 shown]
	v_mul_f64 v[0:1], v[30:31], s[4:5]
	s_mov_b32 s7, 0xbfef11f4
	v_add_f64 v[83:84], v[61:62], -v[42:43]
	v_add_f64 v[81:82], v[65:66], v[69:70]
	v_mul_f64 v[2:3], v[77:78], s[14:15]
	s_mov_b32 s10, 0x24c2f84
	s_mov_b32 s16, 0xe00740e9
	;; [unrolled: 1-line block ×3, first 2 shown]
	v_fma_f64 v[4:5], v[79:80], s[6:7], -v[0:1]
	v_fma_f64 v[0:1], v[79:80], s[6:7], v[0:1]
	s_mov_b32 s17, 0x3fec55a7
	v_add_f64 v[75:76], v[59:60], v[40:41]
	v_mul_f64 v[6:7], v[83:84], s[10:11]
	v_fma_f64 v[8:9], v[81:82], s[16:17], -v[2:3]
	v_fma_f64 v[2:3], v[81:82], s[16:17], v[2:3]
	v_add_f64 v[87:88], v[53:54], -v[38:39]
	v_add_f64 v[4:5], v[63:64], v[4:5]
	v_add_f64 v[0:1], v[63:64], v[0:1]
	s_mov_b32 s34, 0x42a4c3d2
	s_mov_b32 s18, 0xd0032e0c
	;; [unrolled: 1-line block ×4, first 2 shown]
	v_add_f64 v[12:13], v[51:52], v[36:37]
	s_mov_b32 s20, 0x1ea71119
	v_add_f64 v[4:5], v[8:9], v[4:5]
	v_fma_f64 v[8:9], v[75:76], s[18:19], -v[6:7]
	v_add_f64 v[0:1], v[2:3], v[0:1]
	v_mul_f64 v[2:3], v[87:88], s[34:35]
	v_fma_f64 v[6:7], v[75:76], s[18:19], v[6:7]
	s_mov_b32 s21, 0x3fe22d96
	v_add_f64 v[95:96], v[46:47], -v[34:35]
	s_mov_b32 s22, 0x2ef20147
	s_mov_b32 s23, 0xbfedeba7
	v_add_f64 v[4:5], v[8:9], v[4:5]
	v_add_f64 v[97:98], v[44:45], v[32:33]
	v_fma_f64 v[8:9], v[12:13], s[20:21], -v[2:3]
	v_fma_f64 v[2:3], v[12:13], s[20:21], v[2:3]
	v_add_f64 v[0:1], v[6:7], v[0:1]
	s_mov_b32 s24, 0xb2365da1
	s_mov_b32 s25, 0xbfd6b1d8
	v_add_f64 v[99:100], v[24:25], -v[26:27]
	s_mov_b32 s28, 0x66966769
	s_mov_b32 s29, 0x3fefc445
	v_add_f64 v[4:5], v[8:9], v[4:5]
	v_add_f64 v[101:102], v[20:21], v[22:23]
	;; [unrolled: 1-line block ×3, first 2 shown]
	v_mul_f64 v[2:3], v[95:96], s[22:23]
	s_mov_b32 s26, 0xebaa3ed8
	s_mov_b32 s27, 0x3fbedb7d
	v_mul_f64 v[8:9], v[77:78], s[28:29]
	s_mov_b32 s31, 0xbfea55e2
	s_mov_b32 s30, s34
	;; [unrolled: 1-line block ×4, first 2 shown]
	v_fma_f64 v[6:7], v[97:98], s[24:25], -v[2:3]
	v_fma_f64 v[2:3], v[97:98], s[24:25], v[2:3]
	s_mov_b32 s37, 0x3fe5384d
	v_fma_f64 v[10:11], v[81:82], s[26:27], -v[8:9]
	v_fma_f64 v[8:9], v[81:82], s[26:27], v[8:9]
	s_mov_b32 s36, s10
	s_mov_b32 s39, 0xbfefc445
	;; [unrolled: 1-line block ×3, first 2 shown]
	v_add_f64 v[4:5], v[6:7], v[4:5]
	v_mul_f64 v[6:7], v[99:100], s[28:29]
	v_add_f64 v[2:3], v[2:3], v[0:1]
	v_fma_f64 v[0:1], v[101:102], s[26:27], -v[6:7]
	v_add_f64 v[0:1], v[0:1], v[4:5]
	v_fma_f64 v[4:5], v[101:102], s[26:27], v[6:7]
	v_mul_f64 v[6:7], v[30:31], s[10:11]
	v_add_f64 v[2:3], v[4:5], v[2:3]
	v_fma_f64 v[4:5], v[79:80], s[18:19], -v[6:7]
	v_fma_f64 v[6:7], v[79:80], s[18:19], v[6:7]
	v_add_f64 v[4:5], v[63:64], v[4:5]
	v_add_f64 v[6:7], v[63:64], v[6:7]
	;; [unrolled: 1-line block ×3, first 2 shown]
	v_mul_f64 v[10:11], v[83:84], s[30:31]
	v_add_f64 v[6:7], v[8:9], v[6:7]
	v_fma_f64 v[14:15], v[75:76], s[20:21], -v[10:11]
	v_fma_f64 v[8:9], v[75:76], s[20:21], v[10:11]
	v_mul_f64 v[10:11], v[30:31], s[22:23]
	v_add_f64 v[4:5], v[14:15], v[4:5]
	v_mul_f64 v[14:15], v[87:88], s[40:41]
	v_add_f64 v[6:7], v[8:9], v[6:7]
	v_fma_f64 v[85:86], v[12:13], s[6:7], -v[14:15]
	v_fma_f64 v[8:9], v[12:13], s[6:7], v[14:15]
	v_mul_f64 v[14:15], v[77:78], s[36:37]
	v_add_f64 v[4:5], v[85:86], v[4:5]
	v_mul_f64 v[85:86], v[95:96], s[14:15]
	v_add_f64 v[6:7], v[8:9], v[6:7]
	v_fma_f64 v[103:104], v[97:98], s[16:17], -v[85:86]
	v_fma_f64 v[8:9], v[97:98], s[16:17], v[85:86]
	v_fma_f64 v[85:86], v[81:82], s[18:19], -v[14:15]
	v_fma_f64 v[14:15], v[81:82], s[18:19], v[14:15]
	v_add_f64 v[4:5], v[103:104], v[4:5]
	v_mul_f64 v[103:104], v[99:100], s[22:23]
	v_add_f64 v[6:7], v[8:9], v[6:7]
	v_fma_f64 v[8:9], v[101:102], s[24:25], v[103:104]
	v_fma_f64 v[105:106], v[101:102], s[24:25], -v[103:104]
	v_add_f64 v[6:7], v[8:9], v[6:7]
	v_fma_f64 v[8:9], v[79:80], s[24:25], -v[10:11]
	v_fma_f64 v[10:11], v[79:80], s[24:25], v[10:11]
	v_add_f64 v[4:5], v[105:106], v[4:5]
	v_add_f64 v[8:9], v[63:64], v[8:9]
	;; [unrolled: 1-line block ×4, first 2 shown]
	v_mul_f64 v[85:86], v[83:84], s[14:15]
	v_add_f64 v[10:11], v[14:15], v[10:11]
	v_fma_f64 v[103:104], v[75:76], s[16:17], -v[85:86]
	v_fma_f64 v[14:15], v[75:76], s[16:17], v[85:86]
	v_mul_f64 v[85:86], v[30:31], s[38:39]
	v_add_f64 v[8:9], v[103:104], v[8:9]
	v_mul_f64 v[103:104], v[87:88], s[38:39]
	v_add_f64 v[10:11], v[14:15], v[10:11]
	v_fma_f64 v[105:106], v[12:13], s[26:27], -v[103:104]
	v_fma_f64 v[14:15], v[12:13], s[26:27], v[103:104]
	v_mul_f64 v[103:104], v[77:78], s[4:5]
	v_add_f64 v[8:9], v[105:106], v[8:9]
	v_mul_f64 v[105:106], v[95:96], s[40:41]
	v_add_f64 v[10:11], v[14:15], v[10:11]
	v_fma_f64 v[107:108], v[97:98], s[6:7], -v[105:106]
	v_fma_f64 v[14:15], v[97:98], s[6:7], v[105:106]
	v_fma_f64 v[105:106], v[81:82], s[6:7], -v[103:104]
	v_fma_f64 v[103:104], v[81:82], s[6:7], v[103:104]
	v_add_f64 v[8:9], v[107:108], v[8:9]
	v_mul_f64 v[107:108], v[99:100], s[34:35]
	v_add_f64 v[10:11], v[14:15], v[10:11]
	s_mov_b32 s35, 0x3fedeba7
	s_mov_b32 s34, s22
	v_fma_f64 v[14:15], v[101:102], s[20:21], v[107:108]
	v_fma_f64 v[109:110], v[101:102], s[20:21], -v[107:108]
	v_add_f64 v[10:11], v[14:15], v[10:11]
	v_fma_f64 v[14:15], v[79:80], s[26:27], -v[85:86]
	v_fma_f64 v[85:86], v[79:80], s[26:27], v[85:86]
	v_add_f64 v[8:9], v[109:110], v[8:9]
	v_add_f64 v[14:15], v[63:64], v[14:15]
	;; [unrolled: 1-line block ×4, first 2 shown]
	v_mul_f64 v[105:106], v[83:84], s[34:35]
	v_add_f64 v[85:86], v[103:104], v[85:86]
	v_fma_f64 v[107:108], v[75:76], s[24:25], -v[105:106]
	v_fma_f64 v[103:104], v[75:76], s[24:25], v[105:106]
	v_mul_f64 v[105:106], v[30:31], s[30:31]
	v_add_f64 v[14:15], v[107:108], v[14:15]
	v_mul_f64 v[107:108], v[87:88], s[14:15]
	v_add_f64 v[85:86], v[103:104], v[85:86]
	v_fma_f64 v[109:110], v[12:13], s[16:17], -v[107:108]
	v_fma_f64 v[103:104], v[12:13], s[16:17], v[107:108]
	v_mul_f64 v[107:108], v[77:78], s[22:23]
	v_mul_f64 v[77:78], v[77:78], s[30:31]
	v_add_f64 v[14:15], v[109:110], v[14:15]
	v_mul_f64 v[109:110], v[95:96], s[30:31]
	v_add_f64 v[85:86], v[103:104], v[85:86]
	v_fma_f64 v[111:112], v[97:98], s[20:21], -v[109:110]
	v_fma_f64 v[103:104], v[97:98], s[20:21], v[109:110]
	v_fma_f64 v[109:110], v[81:82], s[24:25], -v[107:108]
	v_fma_f64 v[107:108], v[81:82], s[24:25], v[107:108]
	v_add_f64 v[14:15], v[111:112], v[14:15]
	v_mul_f64 v[111:112], v[99:100], s[10:11]
	v_add_f64 v[85:86], v[103:104], v[85:86]
	v_fma_f64 v[103:104], v[101:102], s[18:19], v[111:112]
	v_fma_f64 v[113:114], v[101:102], s[18:19], -v[111:112]
	v_add_f64 v[103:104], v[103:104], v[85:86]
	v_fma_f64 v[85:86], v[79:80], s[20:21], -v[105:106]
	v_fma_f64 v[105:106], v[79:80], s[20:21], v[105:106]
	v_add_f64 v[14:15], v[113:114], v[14:15]
	v_add_f64 v[85:86], v[63:64], v[85:86]
	;; [unrolled: 1-line block ×4, first 2 shown]
	v_mul_f64 v[109:110], v[83:84], s[4:5]
	v_add_f64 v[105:106], v[107:108], v[105:106]
	v_mul_f64 v[83:84], v[83:84], s[38:39]
	v_fma_f64 v[111:112], v[75:76], s[6:7], -v[109:110]
	v_fma_f64 v[107:108], v[75:76], s[6:7], v[109:110]
	v_add_f64 v[85:86], v[111:112], v[85:86]
	v_mul_f64 v[111:112], v[87:88], s[36:37]
	v_add_f64 v[105:106], v[107:108], v[105:106]
	v_fma_f64 v[113:114], v[12:13], s[18:19], -v[111:112]
	v_fma_f64 v[107:108], v[12:13], s[18:19], v[111:112]
	v_add_f64 v[85:86], v[113:114], v[85:86]
	v_mul_f64 v[113:114], v[95:96], s[28:29]
	v_add_f64 v[105:106], v[107:108], v[105:106]
	v_fma_f64 v[115:116], v[97:98], s[26:27], -v[113:114]
	v_fma_f64 v[107:108], v[97:98], s[26:27], v[113:114]
	v_add_f64 v[85:86], v[115:116], v[85:86]
	v_mul_f64 v[115:116], v[99:100], s[14:15]
	s_mov_b32 s15, 0xbfddbe06
	v_add_f64 v[105:106], v[107:108], v[105:106]
	v_mul_f64 v[30:31], v[30:31], s[14:15]
	v_fma_f64 v[107:108], v[101:102], s[16:17], v[115:116]
	v_fma_f64 v[117:118], v[101:102], s[16:17], -v[115:116]
	v_add_f64 v[105:106], v[107:108], v[105:106]
	v_fma_f64 v[107:108], v[75:76], s[26:27], -v[83:84]
	v_fma_f64 v[75:76], v[75:76], s[26:27], v[83:84]
	v_fma_f64 v[83:84], v[79:80], s[16:17], -v[30:31]
	v_fma_f64 v[30:31], v[79:80], s[16:17], v[30:31]
	;; [unrolled: 2-line block ×3, first 2 shown]
	v_add_f64 v[85:86], v[117:118], v[85:86]
	v_add_f64 v[30:31], v[63:64], v[30:31]
	;; [unrolled: 1-line block ×8, first 2 shown]
	v_mul_f64 v[75:76], v[87:88], s[22:23]
	v_add_f64 v[63:64], v[63:64], v[59:60]
	v_fma_f64 v[79:80], v[12:13], s[24:25], v[75:76]
	v_fma_f64 v[12:13], v[12:13], s[24:25], -v[75:76]
	v_add_f64 v[75:76], v[107:108], v[77:78]
	v_mul_f64 v[77:78], v[95:96], s[10:11]
	v_add_f64 v[63:64], v[63:64], v[51:52]
	v_add_f64 v[30:31], v[79:80], v[30:31]
	;; [unrolled: 1-line block ×3, first 2 shown]
	v_fma_f64 v[79:80], v[97:98], s[18:19], v[77:78]
	v_mul_f64 v[75:76], v[99:100], s[4:5]
	v_fma_f64 v[77:78], v[97:98], s[18:19], -v[77:78]
	s_movk_i32 s4, 0x270
	v_add_f64 v[63:64], v[63:64], v[44:45]
	v_add_f64 v[30:31], v[79:80], v[30:31]
	v_fma_f64 v[79:80], v[101:102], s[6:7], v[75:76]
	v_fma_f64 v[75:76], v[101:102], s[6:7], -v[75:76]
	v_add_f64 v[12:13], v[77:78], v[12:13]
	v_add_f64 v[63:64], v[63:64], v[20:21]
	;; [unrolled: 1-line block ×5, first 2 shown]
	v_mov_b32_e32 v76, 3
	v_mad_u32_u24 v75, v93, s4, 0
	v_lshlrev_b32_sdwa v76, v76, v94 dst_sel:DWORD dst_unused:UNUSED_PAD src0_sel:DWORD src1_sel:BYTE_0
	v_add3_u32 v75, v75, v76, v92
	v_add_f64 v[63:64], v[63:64], v[32:33]
	v_add_f64 v[63:64], v[63:64], v[36:37]
	;; [unrolled: 1-line block ×5, first 2 shown]
	ds_write2_b64 v75, v[63:64], v[30:31] offset1:6
	ds_write2_b64 v75, v[105:106], v[103:104] offset0:12 offset1:18
	ds_write2_b64 v75, v[10:11], v[6:7] offset0:24 offset1:30
	;; [unrolled: 1-line block ×5, first 2 shown]
	ds_write_b64 v75, v[12:13] offset:576
.LBB0_24:
	s_or_b64 exec, exec, s[2:3]
	v_add_u32_e32 v77, 0x400, v90
	v_add_u32_e32 v75, 0x800, v90
	;; [unrolled: 1-line block ×3, first 2 shown]
	s_waitcnt lgkmcnt(0)
	s_barrier
	ds_read2_b64 v[0:3], v90 offset0:78 offset1:156
	ds_read2_b64 v[4:7], v77 offset0:106 offset1:184
	;; [unrolled: 1-line block ×4, first 2 shown]
	ds_read_b64 v[30:31], v89
	ds_read_b64 v[63:64], v90 offset:5616
	s_waitcnt lgkmcnt(0)
	s_barrier
	s_and_saveexec_b64 s[2:3], s[0:1]
	s_cbranch_execz .LBB0_26
; %bb.25:
	v_add_f64 v[78:79], v[49:50], v[73:74]
	v_add_f64 v[18:19], v[71:72], -v[18:19]
	v_add_f64 v[65:66], v[65:66], -v[69:70]
	v_add_f64 v[73:74], v[73:74], v[16:17]
	s_mov_b32 s10, 0xe00740e9
	s_mov_b32 s14, 0x1ea71119
	;; [unrolled: 1-line block ×4, first 2 shown]
	v_add_f64 v[71:72], v[78:79], v[67:68]
	s_mov_b32 s36, 0xd0032e0c
	s_mov_b32 s42, 0x93053d00
	;; [unrolled: 1-line block ×7, first 2 shown]
	v_add_f64 v[71:72], v[71:72], v[61:62]
	s_mov_b32 s43, 0xbfef11f4
	v_add_f64 v[67:68], v[67:68], v[28:29]
	v_mul_f64 v[78:79], v[73:74], s[14:15]
	v_mul_f64 v[80:81], v[73:74], s[20:21]
	;; [unrolled: 1-line block ×4, first 2 shown]
	s_mov_b32 s4, 0x4267c47c
	v_add_f64 v[71:72], v[71:72], v[53:54]
	s_mov_b32 s0, 0x42a4c3d2
	s_mov_b32 s16, 0x66966769
	;; [unrolled: 1-line block ×7, first 2 shown]
	v_add_f64 v[71:72], v[71:72], v[46:47]
	s_mov_b32 s1, 0x3fea55e2
	s_mov_b32 s7, 0xbfea55e2
	s_mov_b32 s17, 0x3fefc445
	s_mov_b32 s23, 0xbfefc445
	s_mov_b32 s25, 0x3fedeba7
	s_mov_b32 s29, 0xbfedeba7
	s_mov_b32 s31, 0x3fe5384d
	v_add_f64 v[69:70], v[71:72], v[24:25]
	v_mul_f64 v[71:72], v[73:74], s[10:11]
	v_mul_f64 v[73:74], v[73:74], s[42:43]
	s_mov_b32 s35, 0xbfe5384d
	s_mov_b32 s39, 0x3fcea1e5
	;; [unrolled: 1-line block ×5, first 2 shown]
	v_add_f64 v[69:70], v[69:70], v[26:27]
	s_mov_b32 s22, s16
	s_mov_b32 s28, s24
	;; [unrolled: 1-line block ×4, first 2 shown]
	v_mul_f64 v[86:87], v[67:68], s[14:15]
	v_fma_f64 v[99:100], v[18:19], s[4:5], v[71:72]
	v_fma_f64 v[71:72], v[18:19], s[18:19], v[71:72]
	v_add_f64 v[69:70], v[69:70], v[34:35]
	v_fma_f64 v[101:102], v[18:19], s[0:1], v[78:79]
	v_fma_f64 v[78:79], v[18:19], s[6:7], v[78:79]
	;; [unrolled: 1-line block ×7, first 2 shown]
	v_add_f64 v[69:70], v[69:70], v[38:39]
	v_fma_f64 v[84:85], v[18:19], s[34:35], v[84:85]
	v_fma_f64 v[109:110], v[18:19], s[38:39], v[73:74]
	;; [unrolled: 1-line block ×3, first 2 shown]
	v_mul_f64 v[95:96], v[67:68], s[26:27]
	v_mul_f64 v[97:98], v[67:68], s[42:43]
	v_fma_f64 v[73:74], v[65:66], s[0:1], v[86:87]
	v_add_f64 v[99:100], v[49:50], v[99:100]
	v_add_f64 v[69:70], v[69:70], v[42:43]
	;; [unrolled: 1-line block ×14, first 2 shown]
	v_mul_f64 v[49:50], v[67:68], s[36:37]
	v_fma_f64 v[111:112], v[65:66], s[24:25], v[95:96]
	v_fma_f64 v[95:96], v[65:66], s[28:29], v[95:96]
	v_add_f64 v[16:17], v[28:29], v[16:17]
	v_add_f64 v[28:29], v[73:74], v[99:100]
	v_fma_f64 v[73:74], v[65:66], s[38:39], v[97:98]
	v_fma_f64 v[97:98], v[65:66], s[40:41], v[97:98]
	v_mul_f64 v[99:100], v[67:68], s[20:21]
	v_add_f64 v[42:43], v[61:62], v[42:43]
	v_fma_f64 v[61:62], v[65:66], s[34:35], v[49:50]
	v_fma_f64 v[86:87], v[65:66], s[6:7], v[86:87]
	v_add_f64 v[78:79], v[95:96], v[78:79]
	v_fma_f64 v[49:50], v[65:66], s[30:31], v[49:50]
	v_mul_f64 v[67:68], v[67:68], s[10:11]
	v_add_f64 v[69:70], v[97:98], v[69:70]
	v_fma_f64 v[95:96], v[65:66], s[22:23], v[99:100]
	v_add_f64 v[40:41], v[59:60], -v[40:41]
	v_mul_f64 v[59:60], v[42:43], s[20:21]
	v_add_f64 v[61:62], v[61:62], v[80:81]
	v_fma_f64 v[80:81], v[65:66], s[16:17], v[99:100]
	v_mul_f64 v[97:98], v[42:43], s[42:43]
	v_add_f64 v[71:72], v[86:87], v[71:72]
	v_add_f64 v[86:87], v[111:112], v[101:102]
	;; [unrolled: 1-line block ×3, first 2 shown]
	v_fma_f64 v[82:83], v[65:66], s[18:19], v[67:68]
	v_fma_f64 v[65:66], v[65:66], s[4:5], v[67:68]
	v_add_f64 v[67:68], v[95:96], v[105:106]
	v_fma_f64 v[95:96], v[40:41], s[16:17], v[59:60]
	v_mul_f64 v[99:100], v[42:43], s[26:27]
	v_add_f64 v[80:81], v[80:81], v[84:85]
	v_fma_f64 v[59:60], v[40:41], s[22:23], v[59:60]
	v_fma_f64 v[84:85], v[40:41], s[38:39], v[97:98]
	v_add_f64 v[73:74], v[73:74], v[103:104]
	v_add_f64 v[18:19], v[65:66], v[18:19]
	v_fma_f64 v[65:66], v[40:41], s[40:41], v[97:98]
	v_add_f64 v[28:29], v[95:96], v[28:29]
	v_fma_f64 v[95:96], v[40:41], s[28:29], v[99:100]
	v_mul_f64 v[97:98], v[42:43], s[10:11]
	v_add_f64 v[59:60], v[59:60], v[71:72]
	v_fma_f64 v[71:72], v[40:41], s[24:25], v[99:100]
	v_add_f64 v[84:85], v[84:85], v[86:87]
	v_mul_f64 v[86:87], v[42:43], s[14:15]
	v_add_f64 v[38:39], v[53:54], v[38:39]
	v_add_f64 v[65:66], v[65:66], v[78:79]
	;; [unrolled: 1-line block ×3, first 2 shown]
	v_fma_f64 v[73:74], v[40:41], s[18:19], v[97:98]
	v_fma_f64 v[78:79], v[40:41], s[4:5], v[97:98]
	v_add_f64 v[69:70], v[71:72], v[69:70]
	v_mul_f64 v[42:43], v[42:43], s[36:37]
	v_fma_f64 v[71:72], v[40:41], s[0:1], v[86:87]
	v_add_f64 v[36:37], v[51:52], -v[36:37]
	v_mul_f64 v[51:52], v[38:39], s[26:27]
	v_fma_f64 v[86:87], v[40:41], s[6:7], v[86:87]
	v_add_f64 v[61:62], v[73:74], v[61:62]
	v_add_f64 v[49:50], v[78:79], v[49:50]
	v_mul_f64 v[73:74], v[38:39], s[36:37]
	v_fma_f64 v[78:79], v[40:41], s[30:31], v[42:43]
	v_fma_f64 v[40:41], v[40:41], s[34:35], v[42:43]
	v_add_f64 v[42:43], v[71:72], v[67:68]
	v_fma_f64 v[67:68], v[36:37], s[24:25], v[51:52]
	v_add_f64 v[82:83], v[82:83], v[107:108]
	v_add_f64 v[71:72], v[86:87], v[80:81]
	v_mul_f64 v[80:81], v[38:39], s[10:11]
	v_fma_f64 v[86:87], v[36:37], s[34:35], v[73:74]
	v_add_f64 v[34:35], v[46:47], v[34:35]
	v_add_f64 v[18:19], v[40:41], v[18:19]
	v_fma_f64 v[40:41], v[36:37], s[30:31], v[73:74]
	v_add_f64 v[28:29], v[67:68], v[28:29]
	v_mul_f64 v[67:68], v[38:39], s[20:21]
	v_add_f64 v[78:79], v[78:79], v[82:83]
	v_fma_f64 v[73:74], v[36:37], s[18:19], v[80:81]
	v_fma_f64 v[80:81], v[36:37], s[4:5], v[80:81]
	v_mul_f64 v[82:83], v[38:39], s[42:43]
	v_mul_f64 v[38:39], v[38:39], s[14:15]
	v_add_f64 v[40:41], v[40:41], v[65:66]
	v_fma_f64 v[51:52], v[36:37], s[28:29], v[51:52]
	v_fma_f64 v[46:47], v[36:37], s[16:17], v[67:68]
	;; [unrolled: 1-line block ×3, first 2 shown]
	v_add_f64 v[32:33], v[44:45], -v[32:33]
	v_add_f64 v[67:68], v[80:81], v[69:70]
	v_fma_f64 v[69:70], v[36:37], s[40:41], v[82:83]
	v_mul_f64 v[44:45], v[34:35], s[36:37]
	v_add_f64 v[53:54], v[73:74], v[53:54]
	v_mul_f64 v[73:74], v[34:35], s[20:21]
	v_add_f64 v[46:47], v[46:47], v[61:62]
	v_fma_f64 v[61:62], v[36:37], s[38:39], v[82:83]
	v_add_f64 v[49:50], v[65:66], v[49:50]
	v_fma_f64 v[65:66], v[36:37], s[6:7], v[38:39]
	v_fma_f64 v[36:37], v[36:37], s[0:1], v[38:39]
	v_add_f64 v[51:52], v[51:52], v[59:60]
	v_add_f64 v[38:39], v[69:70], v[42:43]
	v_fma_f64 v[42:43], v[32:33], s[30:31], v[44:45]
	v_mul_f64 v[69:70], v[34:35], s[14:15]
	v_fma_f64 v[44:45], v[32:33], s[34:35], v[44:45]
	v_add_f64 v[61:62], v[61:62], v[71:72]
	v_fma_f64 v[71:72], v[32:33], s[22:23], v[73:74]
	v_add_f64 v[18:19], v[36:37], v[18:19]
	v_fma_f64 v[36:37], v[32:33], s[16:17], v[73:74]
	v_mul_f64 v[73:74], v[34:35], s[42:43]
	v_add_f64 v[28:29], v[42:43], v[28:29]
	v_fma_f64 v[42:43], v[32:33], s[0:1], v[69:70]
	v_add_f64 v[44:45], v[44:45], v[51:52]
	v_fma_f64 v[51:52], v[32:33], s[6:7], v[69:70]
	v_add_f64 v[24:25], v[24:25], v[26:27]
	v_mul_f64 v[69:70], v[34:35], s[10:11]
	v_add_f64 v[36:37], v[36:37], v[40:41]
	v_fma_f64 v[40:41], v[32:33], s[40:41], v[73:74]
	v_mul_f64 v[34:35], v[34:35], s[26:27]
	v_add_f64 v[26:27], v[42:43], v[53:54]
	v_add_f64 v[20:21], v[20:21], -v[22:23]
	v_add_f64 v[42:43], v[51:52], v[67:68]
	v_fma_f64 v[51:52], v[32:33], s[38:39], v[73:74]
	v_mul_f64 v[22:23], v[24:25], s[42:43]
	v_fma_f64 v[53:54], v[32:33], s[18:19], v[69:70]
	v_fma_f64 v[67:68], v[32:33], s[4:5], v[69:70]
	v_add_f64 v[40:41], v[40:41], v[46:47]
	v_fma_f64 v[46:47], v[32:33], s[24:25], v[34:35]
	v_mul_f64 v[69:70], v[24:25], s[10:11]
	v_fma_f64 v[32:33], v[32:33], s[28:29], v[34:35]
	v_add_f64 v[59:60], v[86:87], v[84:85]
	v_add_f64 v[34:35], v[51:52], v[49:50]
	v_fma_f64 v[49:50], v[20:21], s[38:39], v[22:23]
	v_fma_f64 v[22:23], v[20:21], s[40:41], v[22:23]
	v_add_f64 v[51:52], v[67:68], v[61:62]
	v_mul_f64 v[61:62], v[24:25], s[36:37]
	v_add_f64 v[65:66], v[65:66], v[78:79]
	v_add_f64 v[18:19], v[32:33], v[18:19]
	v_fma_f64 v[32:33], v[20:21], s[4:5], v[69:70]
	v_add_f64 v[59:60], v[71:72], v[59:60]
	v_add_f64 v[38:39], v[53:54], v[38:39]
	v_fma_f64 v[53:54], v[20:21], s[18:19], v[69:70]
	v_add_f64 v[28:29], v[49:50], v[28:29]
	v_mul_f64 v[49:50], v[24:25], s[14:15]
	v_add_f64 v[22:23], v[22:23], v[44:45]
	v_mul_f64 v[44:45], v[24:25], s[26:27]
	v_mul_f64 v[24:25], v[24:25], s[20:21]
	v_add_f64 v[32:33], v[32:33], v[36:37]
	v_fma_f64 v[36:37], v[20:21], s[30:31], v[61:62]
	v_add_f64 v[46:47], v[46:47], v[65:66]
	v_add_f64 v[53:54], v[53:54], v[59:60]
	v_fma_f64 v[59:60], v[20:21], s[34:35], v[61:62]
	v_fma_f64 v[61:62], v[20:21], s[6:7], v[49:50]
	v_fma_f64 v[65:66], v[20:21], s[24:25], v[44:45]
	v_fma_f64 v[49:50], v[20:21], s[0:1], v[49:50]
	v_fma_f64 v[44:45], v[20:21], s[28:29], v[44:45]
	v_fma_f64 v[67:68], v[20:21], s[22:23], v[24:25]
	v_fma_f64 v[20:21], v[20:21], s[16:17], v[24:25]
	v_add_f64 v[24:25], v[36:37], v[26:27]
	v_add_f64 v[26:27], v[59:60], v[42:43]
	;; [unrolled: 1-line block ×8, first 2 shown]
	s_movk_i32 s0, 0x270
	v_mov_b32_e32 v21, 3
	v_mad_u32_u24 v20, v93, s0, 0
	v_lshlrev_b32_sdwa v21, v21, v94 dst_sel:DWORD dst_unused:UNUSED_PAD src0_sel:DWORD src1_sel:BYTE_0
	v_add3_u32 v20, v20, v21, v92
	ds_write2_b64 v20, v[16:17], v[28:29] offset1:6
	ds_write2_b64 v20, v[53:54], v[24:25] offset0:12 offset1:18
	ds_write2_b64 v20, v[36:37], v[38:39] offset0:24 offset1:30
	;; [unrolled: 1-line block ×5, first 2 shown]
	ds_write_b64 v20, v[22:23] offset:576
.LBB0_26:
	s_or_b64 exec, exec, s[2:3]
	v_lshlrev_b32_e32 v16, 2, v58
	v_mov_b32_e32 v17, 0
	v_lshlrev_b64 v[18:19], 4, v[16:17]
	v_mov_b32_e32 v16, s9
	v_add_co_u32_e64 v36, s[0:1], s8, v18
	v_addc_co_u32_e64 v37, s[0:1], v16, v19, s[0:1]
	s_waitcnt lgkmcnt(0)
	s_barrier
	global_load_dwordx4 v[18:21], v[36:37], off offset:1216
	global_load_dwordx4 v[22:25], v[36:37], off offset:1232
	;; [unrolled: 1-line block ×4, first 2 shown]
	ds_read2_b64 v[36:39], v90 offset0:78 offset1:156
	ds_read2_b64 v[40:43], v77 offset0:106 offset1:184
	;; [unrolled: 1-line block ×4, first 2 shown]
	ds_read_b64 v[53:54], v89
	ds_read_b64 v[59:60], v90 offset:5616
	s_mov_b32 s4, 0x134454ff
	s_mov_b32 s5, 0xbfee6f0e
	;; [unrolled: 1-line block ×10, first 2 shown]
	v_add_u32_e32 v16, 0xc00, v90
	s_waitcnt vmcnt(0) lgkmcnt(0)
	s_barrier
	v_mul_f64 v[61:62], v[38:39], v[20:21]
	v_mul_f64 v[65:66], v[2:3], v[20:21]
	;; [unrolled: 1-line block ×16, first 2 shown]
	v_fma_f64 v[2:3], v[2:3], v[18:19], v[61:62]
	v_fma_f64 v[38:39], v[38:39], v[18:19], -v[65:66]
	v_fma_f64 v[6:7], v[6:7], v[22:23], v[67:68]
	v_fma_f64 v[42:43], v[42:43], v[22:23], -v[69:70]
	;; [unrolled: 2-line block ×8, first 2 shown]
	v_add_f64 v[28:29], v[30:31], v[2:3]
	v_add_f64 v[32:33], v[6:7], v[10:11]
	v_add_f64 v[44:45], v[2:3], -v[6:7]
	v_add_f64 v[49:50], v[14:15], -v[10:11]
	v_add_f64 v[59:60], v[2:3], v[14:15]
	v_add_f64 v[65:66], v[53:54], v[38:39]
	;; [unrolled: 1-line block ×3, first 2 shown]
	v_add_f64 v[34:35], v[38:39], -v[51:52]
	v_add_f64 v[40:41], v[42:43], -v[46:47]
	;; [unrolled: 1-line block ×7, first 2 shown]
	v_add_f64 v[78:79], v[38:39], v[51:52]
	v_add_f64 v[38:39], v[42:43], -v[38:39]
	v_add_f64 v[84:85], v[8:9], v[12:13]
	v_add_f64 v[6:7], v[28:29], v[6:7]
	v_fma_f64 v[28:29], v[32:33], -0.5, v[30:31]
	v_add_f64 v[32:33], v[44:45], v[49:50]
	v_fma_f64 v[30:31], v[59:60], -0.5, v[30:31]
	;; [unrolled: 2-line block ×3, first 2 shown]
	v_add_f64 v[73:74], v[51:52], -v[46:47]
	v_add_f64 v[80:81], v[46:47], -v[51:52]
	v_add_f64 v[82:83], v[0:1], v[4:5]
	v_add_f64 v[86:87], v[18:19], -v[26:27]
	v_add_f64 v[44:45], v[61:62], v[63:64]
	v_fma_f64 v[53:54], v[78:79], -0.5, v[53:54]
	v_fma_f64 v[63:64], v[84:85], -0.5, v[0:1]
	v_add_f64 v[6:7], v[6:7], v[10:11]
	v_fma_f64 v[10:11], v[34:35], s[4:5], v[28:29]
	v_fma_f64 v[28:29], v[34:35], s[10:11], v[28:29]
	;; [unrolled: 1-line block ×4, first 2 shown]
	v_add_f64 v[42:43], v[42:43], v[46:47]
	v_fma_f64 v[46:47], v[2:3], s[10:11], v[49:50]
	v_fma_f64 v[49:50], v[2:3], s[4:5], v[49:50]
	v_add_f64 v[92:93], v[20:21], -v[22:23]
	v_add_f64 v[94:95], v[4:5], -v[8:9]
	;; [unrolled: 1-line block ×3, first 2 shown]
	v_add_f64 v[98:99], v[4:5], v[24:25]
	v_add_f64 v[59:60], v[71:72], v[73:74]
	;; [unrolled: 1-line block ×3, first 2 shown]
	v_fma_f64 v[71:72], v[69:70], s[4:5], v[53:54]
	v_fma_f64 v[53:54], v[69:70], s[10:11], v[53:54]
	;; [unrolled: 1-line block ×3, first 2 shown]
	v_add_f64 v[6:7], v[6:7], v[14:15]
	v_fma_f64 v[10:11], v[40:41], s[0:1], v[10:11]
	v_fma_f64 v[14:15], v[40:41], s[6:7], v[28:29]
	;; [unrolled: 1-line block ×4, first 2 shown]
	v_add_f64 v[34:35], v[42:43], v[51:52]
	v_fma_f64 v[40:41], v[69:70], s[6:7], v[46:47]
	v_fma_f64 v[42:43], v[69:70], s[0:1], v[49:50]
	v_add_f64 v[38:39], v[38:39], v[80:81]
	v_add_f64 v[65:66], v[94:95], v[96:97]
	v_fma_f64 v[0:1], v[98:99], -0.5, v[0:1]
	v_add_f64 v[61:62], v[61:62], v[12:13]
	v_fma_f64 v[46:47], v[2:3], s[6:7], v[71:72]
	v_fma_f64 v[2:3], v[2:3], s[0:1], v[53:54]
	;; [unrolled: 1-line block ×9, first 2 shown]
	v_add_f64 v[44:45], v[20:21], v[22:23]
	v_add_f64 v[59:60], v[18:19], v[26:27]
	v_fma_f64 v[42:43], v[38:39], s[2:3], v[46:47]
	v_fma_f64 v[38:39], v[38:39], s[2:3], v[2:3]
	v_add_f64 v[2:3], v[61:62], v[24:25]
	v_fma_f64 v[46:47], v[65:66], s[2:3], v[49:50]
	v_fma_f64 v[49:50], v[86:87], s[10:11], v[63:64]
	;; [unrolled: 1-line block ×3, first 2 shown]
	v_add_f64 v[53:54], v[8:9], -v[4:5]
	v_add_f64 v[61:62], v[12:13], -v[24:25]
	v_add_f64 v[63:64], v[36:37], v[18:19]
	v_fma_f64 v[44:45], v[44:45], -0.5, v[36:37]
	v_add_f64 v[4:5], v[4:5], -v[24:25]
	v_add_f64 v[8:9], v[8:9], -v[12:13]
	v_fma_f64 v[12:13], v[59:60], -0.5, v[36:37]
	v_fma_f64 v[0:1], v[92:93], s[4:5], v[0:1]
	v_fma_f64 v[24:25], v[92:93], s[6:7], v[49:50]
	;; [unrolled: 1-line block ×3, first 2 shown]
	v_add_f64 v[36:37], v[53:54], v[61:62]
	v_add_f64 v[51:52], v[63:64], v[20:21]
	v_fma_f64 v[53:54], v[4:5], s[10:11], v[44:45]
	v_add_f64 v[59:60], v[18:19], -v[20:21]
	v_add_f64 v[61:62], v[26:27], -v[22:23]
	v_fma_f64 v[44:45], v[4:5], s[4:5], v[44:45]
	v_fma_f64 v[63:64], v[8:9], s[4:5], v[12:13]
	v_add_f64 v[18:19], v[20:21], -v[18:19]
	v_add_f64 v[20:21], v[22:23], -v[26:27]
	v_fma_f64 v[12:13], v[8:9], s[10:11], v[12:13]
	v_fma_f64 v[0:1], v[86:87], s[6:7], v[0:1]
	v_add_f64 v[22:23], v[51:52], v[22:23]
	v_fma_f64 v[51:52], v[8:9], s[6:7], v[53:54]
	v_add_f64 v[53:54], v[59:60], v[61:62]
	v_fma_f64 v[8:9], v[8:9], s[0:1], v[44:45]
	v_fma_f64 v[44:45], v[4:5], s[6:7], v[63:64]
	v_add_f64 v[18:19], v[18:19], v[20:21]
	v_fma_f64 v[4:5], v[4:5], s[0:1], v[12:13]
	v_fma_f64 v[20:21], v[36:37], s[2:3], v[49:50]
	;; [unrolled: 1-line block ×4, first 2 shown]
	v_add_f64 v[22:23], v[22:23], v[26:27]
	v_fma_f64 v[26:27], v[53:54], s[2:3], v[8:9]
	ds_write2_b64 v90, v[6:7], v[10:11] offset1:78
	ds_write2_b64 v90, v[28:29], v[30:31] offset0:156 offset1:234
	ds_write2_b64 v75, v[14:15], v[2:3] offset0:56 offset1:134
	v_fma_f64 v[36:37], v[18:19], s[2:3], v[44:45]
	v_fma_f64 v[44:45], v[18:19], s[2:3], v[4:5]
	ds_write2_b64 v16, v[46:47], v[20:21] offset0:84 offset1:162
	ds_write2_b64 v76, v[0:1], v[12:13] offset0:112 offset1:190
	s_waitcnt lgkmcnt(0)
	s_barrier
	ds_read2_b64 v[12:15], v75 offset0:134 offset1:212
	ds_read2_b64 v[4:7], v90 offset0:78 offset1:156
	;; [unrolled: 1-line block ×4, first 2 shown]
	ds_read_b64 v[18:19], v89
	ds_read_b64 v[20:21], v90 offset:5616
	v_fma_f64 v[24:25], v[53:54], s[2:3], v[51:52]
	s_waitcnt lgkmcnt(0)
	s_barrier
	ds_write2_b64 v90, v[34:35], v[32:33] offset1:78
	ds_write2_b64 v90, v[42:43], v[38:39] offset0:156 offset1:234
	ds_write2_b64 v75, v[40:41], v[22:23] offset0:56 offset1:134
	;; [unrolled: 1-line block ×4, first 2 shown]
	s_waitcnt lgkmcnt(0)
	s_barrier
	s_and_saveexec_b64 s[0:1], vcc
	s_cbranch_execz .LBB0_28
; %bb.27:
	v_mov_b32_e32 v49, v17
	v_lshlrev_b64 v[22:23], 4, v[48:49]
	v_mov_b32_e32 v59, v17
	v_mov_b32_e32 v16, s9
	v_add_co_u32_e32 v22, vcc, s8, v22
	v_lshlrev_b64 v[46:47], 4, v[58:59]
	v_addc_co_u32_e32 v36, vcc, v16, v23, vcc
	v_add_co_u32_e32 v42, vcc, 0x1000, v22
	v_add_co_u32_e64 v22, s[0:1], s8, v46
	v_addc_co_u32_e64 v16, s[0:1], v16, v47, s[0:1]
	s_movk_i32 s2, 0x2000
	v_add_co_u32_e64 v44, s[0:1], s2, v22
	s_movk_i32 s3, 0x1000
	v_addc_co_u32_e64 v45, s[0:1], 0, v16, s[0:1]
	v_add_co_u32_e64 v34, s[0:1], s3, v22
	v_addc_co_u32_e64 v35, s[0:1], 0, v16, s[0:1]
	global_load_dwordx4 v[22:25], v[44:45], off offset:1760
	global_load_dwordx4 v[26:29], v[34:35], off offset:3360
	;; [unrolled: 1-line block ×3, first 2 shown]
	v_addc_co_u32_e32 v43, vcc, 0, v36, vcc
	global_load_dwordx4 v[34:37], v[42:43], off offset:2112
	global_load_dwordx4 v[38:41], v[44:45], off offset:512
	v_add_u32_e32 v16, 0x400, v90
	v_add_u32_e32 v58, 0x1000, v90
	;; [unrolled: 1-line block ×3, first 2 shown]
	s_mov_b32 s0, 0xa80a80a9
	ds_read2_b64 v[42:45], v90 offset0:78 offset1:156
	ds_read_b64 v[53:54], v90 offset:5616
	ds_read_b64 v[66:67], v89
	ds_read2_b64 v[49:52], v16 offset0:106 offset1:184
	ds_read2_b64 v[58:61], v58 offset0:34 offset1:112
	ds_read2_b64 v[62:65], v62 offset0:134 offset1:212
	v_mul_hi_u32 v16, v55, s0
	v_mov_b32_e32 v68, s13
	v_add_co_u32_e32 v84, vcc, s12, v56
	v_addc_co_u32_e32 v57, vcc, v68, v57, vcc
	v_add_co_u32_e32 v55, vcc, v84, v46
	v_lshrrev_b32_e32 v16, 7, v16
	v_addc_co_u32_e32 v56, vcc, v57, v47, vcc
	v_mul_u32_u24_e32 v16, 0x186, v16
	v_add_co_u32_e32 v68, vcc, s3, v55
	v_lshlrev_b64 v[46:47], 4, v[16:17]
	v_addc_co_u32_e32 v69, vcc, 0, v56, vcc
	v_add_co_u32_e32 v72, vcc, v55, v46
	v_addc_co_u32_e32 v73, vcc, v56, v47, vcc
	v_mul_hi_u32 v70, v91, s0
	v_add_co_u32_e32 v74, vcc, s2, v72
	v_addc_co_u32_e32 v75, vcc, 0, v73, vcc
	v_lshrrev_b32_e32 v70, 7, v70
	v_mul_u32_u24_e32 v16, 0x186, v70
	v_lshlrev_b64 v[70:71], 4, v[16:17]
	s_movk_i32 s1, 0x186
	s_waitcnt vmcnt(4)
	v_mul_f64 v[46:47], v[10:11], v[24:25]
	s_waitcnt lgkmcnt(1)
	v_mul_f64 v[24:25], v[60:61], v[24:25]
	s_waitcnt vmcnt(3)
	v_mul_f64 v[76:77], v[14:15], v[28:29]
	s_waitcnt lgkmcnt(0)
	v_mul_f64 v[28:29], v[64:65], v[28:29]
	s_waitcnt vmcnt(2)
	v_mul_f64 v[78:79], v[12:13], v[32:33]
	v_mul_f64 v[32:33], v[62:63], v[32:33]
	s_waitcnt vmcnt(1)
	v_mul_f64 v[80:81], v[20:21], v[36:37]
	;; [unrolled: 3-line block ×3, first 2 shown]
	v_mul_f64 v[40:41], v[58:59], v[40:41]
	v_fma_f64 v[46:47], v[60:61], v[22:23], -v[46:47]
	v_fma_f64 v[22:23], v[10:11], v[22:23], v[24:25]
	v_fma_f64 v[24:25], v[64:65], v[26:27], -v[76:77]
	v_fma_f64 v[26:27], v[14:15], v[26:27], v[28:29]
	;; [unrolled: 2-line block ×5, first 2 shown]
	v_add_f64 v[10:11], v[49:50], -v[46:47]
	v_add_f64 v[8:9], v[0:1], -v[22:23]
	v_add_f64 v[14:15], v[42:43], -v[24:25]
	v_add_f64 v[22:23], v[66:67], -v[28:29]
	v_add_f64 v[20:21], v[18:19], -v[30:31]
	v_add_f64 v[12:13], v[4:5], -v[26:27]
	v_add_f64 v[30:31], v[44:45], -v[36:37]
	v_add_f64 v[28:29], v[6:7], -v[38:39]
	v_add_f64 v[26:27], v[51:52], -v[32:33]
	v_add_f64 v[24:25], v[2:3], -v[34:35]
	v_fma_f64 v[34:35], v[49:50], 2.0, -v[10:11]
	v_fma_f64 v[32:33], v[0:1], 2.0, -v[8:9]
	;; [unrolled: 1-line block ×8, first 2 shown]
	v_lshrrev_b32_e32 v6, 1, v48
	v_add_co_u32_e32 v0, vcc, v55, v70
	v_mul_hi_u32 v6, v6, s0
	v_addc_co_u32_e32 v1, vcc, v56, v71, vcc
	global_store_dwordx4 v[68:69], v[20:23], off offset:2144
	global_store_dwordx4 v[68:69], v[12:15], off offset:3392
	v_fma_f64 v[4:5], v[51:52], 2.0, -v[26:27]
	v_fma_f64 v[2:3], v[2:3], 2.0, -v[24:25]
	global_store_dwordx4 v[74:75], v[28:31], off offset:544
	global_store_dwordx4 v[55:56], v[40:43], off
	global_store_dwordx4 v[55:56], v[36:39], off offset:1248
	global_store_dwordx4 v[72:73], v[44:47], off offset:2496
	;; [unrolled: 1-line block ×3, first 2 shown]
	v_add_co_u32_e32 v0, vcc, s2, v0
	v_addc_co_u32_e32 v1, vcc, 0, v1, vcc
	global_store_dwordx4 v[0:1], v[8:11], off offset:1792
	v_lshrrev_b32_e32 v0, 7, v6
	v_mad_u32_u24 v16, v0, s1, v48
	v_lshlrev_b64 v[0:1], 4, v[16:17]
	v_add_co_u32_e32 v0, vcc, v84, v0
	v_addc_co_u32_e32 v1, vcc, v57, v1, vcc
	global_store_dwordx4 v[0:1], v[2:5], off
	v_add_co_u32_e32 v0, vcc, 0x1000, v0
	v_addc_co_u32_e32 v1, vcc, 0, v1, vcc
	global_store_dwordx4 v[0:1], v[24:27], off offset:2144
.LBB0_28:
	s_endpgm
	.section	.rodata,"a",@progbits
	.p2align	6, 0x0
	.amdhsa_kernel fft_rtc_back_len780_factors_2_3_13_5_2_wgs_234_tpt_78_halfLds_dp_ip_CI_unitstride_sbrr_dirReg
		.amdhsa_group_segment_fixed_size 0
		.amdhsa_private_segment_fixed_size 0
		.amdhsa_kernarg_size 88
		.amdhsa_user_sgpr_count 6
		.amdhsa_user_sgpr_private_segment_buffer 1
		.amdhsa_user_sgpr_dispatch_ptr 0
		.amdhsa_user_sgpr_queue_ptr 0
		.amdhsa_user_sgpr_kernarg_segment_ptr 1
		.amdhsa_user_sgpr_dispatch_id 0
		.amdhsa_user_sgpr_flat_scratch_init 0
		.amdhsa_user_sgpr_private_segment_size 0
		.amdhsa_uses_dynamic_stack 0
		.amdhsa_system_sgpr_private_segment_wavefront_offset 0
		.amdhsa_system_sgpr_workgroup_id_x 1
		.amdhsa_system_sgpr_workgroup_id_y 0
		.amdhsa_system_sgpr_workgroup_id_z 0
		.amdhsa_system_sgpr_workgroup_info 0
		.amdhsa_system_vgpr_workitem_id 0
		.amdhsa_next_free_vgpr 135
		.amdhsa_next_free_sgpr 44
		.amdhsa_reserve_vcc 1
		.amdhsa_reserve_flat_scratch 0
		.amdhsa_float_round_mode_32 0
		.amdhsa_float_round_mode_16_64 0
		.amdhsa_float_denorm_mode_32 3
		.amdhsa_float_denorm_mode_16_64 3
		.amdhsa_dx10_clamp 1
		.amdhsa_ieee_mode 1
		.amdhsa_fp16_overflow 0
		.amdhsa_exception_fp_ieee_invalid_op 0
		.amdhsa_exception_fp_denorm_src 0
		.amdhsa_exception_fp_ieee_div_zero 0
		.amdhsa_exception_fp_ieee_overflow 0
		.amdhsa_exception_fp_ieee_underflow 0
		.amdhsa_exception_fp_ieee_inexact 0
		.amdhsa_exception_int_div_zero 0
	.end_amdhsa_kernel
	.text
.Lfunc_end0:
	.size	fft_rtc_back_len780_factors_2_3_13_5_2_wgs_234_tpt_78_halfLds_dp_ip_CI_unitstride_sbrr_dirReg, .Lfunc_end0-fft_rtc_back_len780_factors_2_3_13_5_2_wgs_234_tpt_78_halfLds_dp_ip_CI_unitstride_sbrr_dirReg
                                        ; -- End function
	.section	.AMDGPU.csdata,"",@progbits
; Kernel info:
; codeLenInByte = 10116
; NumSgprs: 48
; NumVgprs: 135
; ScratchSize: 0
; MemoryBound: 1
; FloatMode: 240
; IeeeMode: 1
; LDSByteSize: 0 bytes/workgroup (compile time only)
; SGPRBlocks: 5
; VGPRBlocks: 33
; NumSGPRsForWavesPerEU: 48
; NumVGPRsForWavesPerEU: 135
; Occupancy: 1
; WaveLimiterHint : 1
; COMPUTE_PGM_RSRC2:SCRATCH_EN: 0
; COMPUTE_PGM_RSRC2:USER_SGPR: 6
; COMPUTE_PGM_RSRC2:TRAP_HANDLER: 0
; COMPUTE_PGM_RSRC2:TGID_X_EN: 1
; COMPUTE_PGM_RSRC2:TGID_Y_EN: 0
; COMPUTE_PGM_RSRC2:TGID_Z_EN: 0
; COMPUTE_PGM_RSRC2:TIDIG_COMP_CNT: 0
	.type	__hip_cuid_139ca96b52f96ca1,@object ; @__hip_cuid_139ca96b52f96ca1
	.section	.bss,"aw",@nobits
	.globl	__hip_cuid_139ca96b52f96ca1
__hip_cuid_139ca96b52f96ca1:
	.byte	0                               ; 0x0
	.size	__hip_cuid_139ca96b52f96ca1, 1

	.ident	"AMD clang version 19.0.0git (https://github.com/RadeonOpenCompute/llvm-project roc-6.4.0 25133 c7fe45cf4b819c5991fe208aaa96edf142730f1d)"
	.section	".note.GNU-stack","",@progbits
	.addrsig
	.addrsig_sym __hip_cuid_139ca96b52f96ca1
	.amdgpu_metadata
---
amdhsa.kernels:
  - .args:
      - .actual_access:  read_only
        .address_space:  global
        .offset:         0
        .size:           8
        .value_kind:     global_buffer
      - .offset:         8
        .size:           8
        .value_kind:     by_value
      - .actual_access:  read_only
        .address_space:  global
        .offset:         16
        .size:           8
        .value_kind:     global_buffer
      - .actual_access:  read_only
        .address_space:  global
        .offset:         24
        .size:           8
        .value_kind:     global_buffer
      - .offset:         32
        .size:           8
        .value_kind:     by_value
      - .actual_access:  read_only
        .address_space:  global
        .offset:         40
        .size:           8
        .value_kind:     global_buffer
      - .actual_access:  read_only
        .address_space:  global
        .offset:         48
        .size:           8
        .value_kind:     global_buffer
      - .offset:         56
        .size:           4
        .value_kind:     by_value
      - .actual_access:  read_only
        .address_space:  global
        .offset:         64
        .size:           8
        .value_kind:     global_buffer
      - .actual_access:  read_only
        .address_space:  global
        .offset:         72
        .size:           8
        .value_kind:     global_buffer
      - .address_space:  global
        .offset:         80
        .size:           8
        .value_kind:     global_buffer
    .group_segment_fixed_size: 0
    .kernarg_segment_align: 8
    .kernarg_segment_size: 88
    .language:       OpenCL C
    .language_version:
      - 2
      - 0
    .max_flat_workgroup_size: 234
    .name:           fft_rtc_back_len780_factors_2_3_13_5_2_wgs_234_tpt_78_halfLds_dp_ip_CI_unitstride_sbrr_dirReg
    .private_segment_fixed_size: 0
    .sgpr_count:     48
    .sgpr_spill_count: 0
    .symbol:         fft_rtc_back_len780_factors_2_3_13_5_2_wgs_234_tpt_78_halfLds_dp_ip_CI_unitstride_sbrr_dirReg.kd
    .uniform_work_group_size: 1
    .uses_dynamic_stack: false
    .vgpr_count:     135
    .vgpr_spill_count: 0
    .wavefront_size: 64
amdhsa.target:   amdgcn-amd-amdhsa--gfx906
amdhsa.version:
  - 1
  - 2
...

	.end_amdgpu_metadata
